;; amdgpu-corpus repo=ROCm/rocFFT kind=compiled arch=gfx1030 opt=O3
	.text
	.amdgcn_target "amdgcn-amd-amdhsa--gfx1030"
	.amdhsa_code_object_version 6
	.protected	bluestein_single_fwd_len252_dim1_sp_op_CI_CI ; -- Begin function bluestein_single_fwd_len252_dim1_sp_op_CI_CI
	.globl	bluestein_single_fwd_len252_dim1_sp_op_CI_CI
	.p2align	8
	.type	bluestein_single_fwd_len252_dim1_sp_op_CI_CI,@function
bluestein_single_fwd_len252_dim1_sp_op_CI_CI: ; @bluestein_single_fwd_len252_dim1_sp_op_CI_CI
; %bb.0:
	s_load_dwordx4 s[0:3], s[4:5], 0x28
	v_mul_u32_u24_e32 v1, 0x411, v0
	v_mov_b32_e32 v33, 0
	v_lshrrev_b32_e32 v1, 16, v1
	v_add_nc_u32_e32 v32, s6, v1
	s_waitcnt lgkmcnt(0)
	v_cmp_gt_u64_e32 vcc_lo, s[0:1], v[32:33]
	s_and_saveexec_b32 s0, vcc_lo
	s_cbranch_execz .LBB0_31
; %bb.1:
	s_clause 0x1
	s_load_dwordx2 s[14:15], s[4:5], 0x0
	s_load_dwordx2 s[12:13], s[4:5], 0x38
	v_mul_lo_u16 v1, v1, 63
	v_sub_nc_u16 v0, v0, v1
	v_and_b32_e32 v37, 0xffff, v0
	v_cmp_gt_u16_e32 vcc_lo, 36, v0
	v_lshlrev_b32_e32 v38, 3, v37
	s_and_saveexec_b32 s1, vcc_lo
	s_cbranch_execz .LBB0_3
; %bb.2:
	s_load_dwordx2 s[6:7], s[4:5], 0x18
	s_waitcnt lgkmcnt(0)
	s_load_dwordx4 s[8:11], s[6:7], 0x0
	s_waitcnt lgkmcnt(0)
	v_mad_u64_u32 v[0:1], null, s10, v32, 0
	v_mad_u64_u32 v[2:3], null, s8, v37, 0
	s_mul_i32 s6, s9, 0x120
	s_mul_hi_u32 s7, s8, 0x120
	s_add_i32 s7, s7, s6
	v_mad_u64_u32 v[4:5], null, s11, v32, v[1:2]
	v_mad_u64_u32 v[5:6], null, s9, v37, v[3:4]
	v_mov_b32_e32 v1, v4
	v_lshlrev_b64 v[0:1], 3, v[0:1]
	v_mov_b32_e32 v3, v5
	s_clause 0x4
	global_load_dwordx2 v[4:5], v38, s[14:15]
	global_load_dwordx2 v[6:7], v38, s[14:15] offset:288
	global_load_dwordx2 v[8:9], v38, s[14:15] offset:576
	;; [unrolled: 1-line block ×4, first 2 shown]
	v_lshlrev_b64 v[2:3], 3, v[2:3]
	v_add_co_u32 v0, s0, s2, v0
	v_add_co_ci_u32_e64 v1, s0, s3, v1, s0
	s_mul_i32 s2, s8, 0x120
	v_add_co_u32 v0, s0, v0, v2
	v_add_co_ci_u32_e64 v1, s0, v1, v3, s0
	v_add_co_u32 v2, s0, v0, s2
	v_add_co_ci_u32_e64 v3, s0, s7, v1, s0
	global_load_dwordx2 v[0:1], v[0:1], off
	v_add_co_u32 v14, s0, v2, s2
	v_add_co_ci_u32_e64 v15, s0, s7, v3, s0
	global_load_dwordx2 v[2:3], v[2:3], off
	v_add_co_u32 v16, s0, v14, s2
	v_add_co_ci_u32_e64 v17, s0, s7, v15, s0
	v_add_co_u32 v18, s0, v16, s2
	v_add_co_ci_u32_e64 v19, s0, s7, v17, s0
	s_clause 0x1
	global_load_dwordx2 v[14:15], v[14:15], off
	global_load_dwordx2 v[16:17], v[16:17], off
	v_add_co_u32 v20, s0, v18, s2
	v_add_co_ci_u32_e64 v21, s0, s7, v19, s0
	global_load_dwordx2 v[18:19], v[18:19], off
	v_add_co_u32 v22, s0, v20, s2
	v_add_co_ci_u32_e64 v23, s0, s7, v21, s0
	global_load_dwordx2 v[20:21], v[20:21], off
	s_clause 0x1
	global_load_dwordx2 v[24:25], v38, s[14:15] offset:1440
	global_load_dwordx2 v[26:27], v38, s[14:15] offset:1728
	global_load_dwordx2 v[22:23], v[22:23], off
	s_waitcnt vmcnt(8)
	v_mul_f32_e32 v28, v1, v5
	v_mul_f32_e32 v29, v0, v5
	s_waitcnt vmcnt(7)
	v_mul_f32_e32 v5, v3, v7
	v_mul_f32_e32 v7, v2, v7
	v_fmac_f32_e32 v28, v0, v4
	v_fma_f32 v29, v1, v4, -v29
	v_fmac_f32_e32 v5, v2, v6
	v_fma_f32 v6, v3, v6, -v7
	s_waitcnt vmcnt(6)
	v_mul_f32_e32 v0, v15, v9
	s_waitcnt vmcnt(5)
	v_mul_f32_e32 v2, v17, v11
	v_mul_f32_e32 v3, v16, v11
	;; [unrolled: 1-line block ×3, first 2 shown]
	v_fmac_f32_e32 v0, v14, v8
	s_waitcnt vmcnt(4)
	v_mul_f32_e32 v7, v19, v13
	v_fmac_f32_e32 v2, v16, v10
	v_fma_f32 v3, v17, v10, -v3
	v_mul_f32_e32 v4, v18, v13
	s_waitcnt vmcnt(2)
	v_mul_f32_e32 v9, v21, v25
	v_mul_f32_e32 v10, v20, v25
	s_waitcnt vmcnt(0)
	v_mul_f32_e32 v11, v23, v27
	v_mul_f32_e32 v13, v22, v27
	v_fma_f32 v1, v15, v8, -v1
	v_fmac_f32_e32 v7, v18, v12
	v_fma_f32 v8, v19, v12, -v4
	v_fmac_f32_e32 v9, v20, v24
	v_fma_f32 v10, v21, v24, -v10
	v_fmac_f32_e32 v11, v22, v26
	v_fma_f32 v12, v23, v26, -v13
	ds_write2_b64 v38, v[28:29], v[5:6] offset1:36
	ds_write2_b64 v38, v[0:1], v[2:3] offset0:72 offset1:108
	ds_write2_b64 v38, v[7:8], v[9:10] offset0:144 offset1:180
	ds_write_b64 v38, v[11:12] offset:1728
.LBB0_3:
	s_or_b32 exec_lo, exec_lo, s1
	v_mov_b32_e32 v2, 0
	v_mov_b32_e32 v3, 0
	;; [unrolled: 1-line block ×3, first 2 shown]
	s_waitcnt lgkmcnt(0)
	s_barrier
	buffer_gl0_inv
	v_mov_b32_e32 v5, v3
	v_mov_b32_e32 v9, v3
	;; [unrolled: 1-line block ×5, first 2 shown]
                                        ; implicit-def: $vgpr12
	s_and_saveexec_b32 s0, vcc_lo
	s_cbranch_execz .LBB0_5
; %bb.4:
	ds_read2_b64 v[0:3], v38 offset1:36
	ds_read2_b64 v[4:7], v38 offset0:72 offset1:108
	ds_read2_b64 v[8:11], v38 offset0:144 offset1:180
	ds_read_b64 v[12:13], v38 offset:1728
.LBB0_5:
	s_or_b32 exec_lo, exec_lo, s0
	s_waitcnt lgkmcnt(0)
	v_add_f32_e32 v14, v12, v2
	v_add_f32_e32 v15, v13, v3
	v_sub_f32_e32 v2, v2, v12
	v_sub_f32_e32 v3, v3, v13
	v_add_f32_e32 v12, v10, v4
	v_add_f32_e32 v13, v11, v5
	v_sub_f32_e32 v4, v4, v10
	v_sub_f32_e32 v5, v5, v11
	;; [unrolled: 4-line block ×4, first 2 shown]
	v_sub_f32_e32 v14, v14, v10
	v_sub_f32_e32 v15, v15, v11
	;; [unrolled: 1-line block ×4, first 2 shown]
	v_add_f32_e32 v18, v4, v6
	v_add_f32_e32 v19, v5, v7
	v_sub_f32_e32 v20, v6, v4
	v_sub_f32_e32 v21, v7, v5
	;; [unrolled: 1-line block ×3, first 2 shown]
	v_add_f32_e32 v8, v8, v10
	v_add_f32_e32 v9, v9, v11
	v_sub_f32_e32 v5, v5, v3
	s_clause 0x1
	s_load_dwordx2 s[6:7], s[4:5], 0x20
	s_load_dwordx2 s[2:3], s[4:5], 0x8
	v_sub_f32_e32 v6, v2, v6
	v_sub_f32_e32 v7, v3, v7
	v_add_f32_e32 v10, v2, v18
	v_add_f32_e32 v11, v3, v19
	v_add_f32_e32 v0, v8, v0
	v_add_f32_e32 v1, v9, v1
	v_mul_f32_e32 v2, 0x3f4a47b2, v14
	v_mul_f32_e32 v3, 0x3f4a47b2, v15
	;; [unrolled: 1-line block ×8, first 2 shown]
	v_fmamk_f32 v8, v8, 0xbf955555, v0
	v_fmamk_f32 v9, v9, 0xbf955555, v1
	;; [unrolled: 1-line block ×4, first 2 shown]
	v_fma_f32 v12, 0x3f3bfb3b, v16, -v12
	v_fma_f32 v13, 0x3f3bfb3b, v17, -v13
	;; [unrolled: 1-line block ×4, first 2 shown]
	v_fmamk_f32 v2, v6, 0x3eae86e6, v18
	v_fmamk_f32 v3, v7, 0x3eae86e6, v19
	v_fma_f32 v18, 0x3f5ff5aa, v4, -v18
	v_fma_f32 v19, 0x3f5ff5aa, v5, -v19
	;; [unrolled: 1-line block ×4, first 2 shown]
	v_add_f32_e32 v5, v14, v8
	v_add_f32_e32 v7, v15, v9
	;; [unrolled: 1-line block ×6, first 2 shown]
	v_fmac_f32_e32 v2, 0x3ee1c552, v10
	v_fmac_f32_e32 v19, 0x3ee1c552, v11
	;; [unrolled: 1-line block ×6, first 2 shown]
	v_sub_f32_e32 v24, v12, v19
	v_add_f32_e32 v25, v18, v13
	v_add_f32_e32 v14, v12, v19
	v_sub_f32_e32 v15, v13, v18
	v_sub_f32_e32 v12, v8, v4
	v_add_f32_e32 v13, v6, v9
	v_sub_f32_e32 v33, v5, v3
	v_add_f32_e32 v34, v2, v7
	v_mul_lo_u16 v41, v37, 7
	s_waitcnt lgkmcnt(0)
	s_barrier
	buffer_gl0_inv
	s_and_saveexec_b32 s0, vcc_lo
	s_cbranch_execz .LBB0_7
; %bb.6:
	v_mov_b32_e32 v11, 3
	v_sub_f32_e32 v6, v9, v6
	v_sub_f32_e32 v10, v7, v2
	v_add_f32_e32 v9, v5, v3
	v_add_f32_e32 v5, v8, v4
	v_lshlrev_b32_sdwa v2, v11, v41 dst_sel:DWORD dst_unused:UNUSED_PAD src0_sel:DWORD src1_sel:WORD_0
	ds_write2_b64 v2, v[0:1], v[9:10] offset1:1
	ds_write2_b64 v2, v[5:6], v[24:25] offset0:2 offset1:3
	ds_write2_b64 v2, v[14:15], v[12:13] offset0:4 offset1:5
	ds_write_b64 v2, v[33:34] offset:48
.LBB0_7:
	s_or_b32 exec_lo, exec_lo, s0
	s_waitcnt lgkmcnt(0)
	s_barrier
	buffer_gl0_inv
	ds_read2_b64 v[8:11], v38 offset1:84
	ds_read_b64 v[16:17], v38 offset:1344
	v_cmp_gt_u16_e64 s0, 21, v37
	s_and_saveexec_b32 s1, s0
	s_cbranch_execz .LBB0_9
; %bb.8:
	ds_read2_b64 v[0:3], v38 offset0:63 offset1:147
	ds_read_b64 v[12:13], v38 offset:1848
	s_waitcnt lgkmcnt(1)
	v_mov_b32_e32 v24, v0
	v_mov_b32_e32 v25, v1
	;; [unrolled: 1-line block ×4, first 2 shown]
.LBB0_9:
	s_or_b32 exec_lo, exec_lo, s1
	v_and_b32_e32 v29, 0xff, v37
	v_add_nc_u16 v28, v37, 63
	v_mov_b32_e32 v20, 21
	s_load_dwordx4 s[4:7], s[6:7], 0x0
	v_mul_lo_u16 v0, v29, 37
	v_and_b32_e32 v30, 0xff, v28
	v_lshrrev_b16 v0, 8, v0
	v_mul_lo_u16 v1, v30, 37
	v_sub_nc_u16 v2, v37, v0
	v_lshrrev_b16 v1, 8, v1
	v_lshrrev_b16 v2, 1, v2
	v_sub_nc_u16 v3, v28, v1
	v_and_b32_e32 v2, 0x7f, v2
	v_lshrrev_b16 v3, 1, v3
	v_add_nc_u16 v0, v2, v0
	v_and_b32_e32 v2, 0x7f, v3
	v_lshrrev_b16 v18, 2, v0
	v_add_nc_u16 v0, v2, v1
	v_mul_lo_u16 v1, v18, 7
	v_lshrrev_b16 v39, 2, v0
	v_mul_u32_u24_sdwa v18, v18, v20 dst_sel:DWORD dst_unused:UNUSED_PAD src0_sel:WORD_0 src1_sel:DWORD
	v_sub_nc_u16 v0, v37, v1
	v_mul_lo_u16 v1, v39, 7
	v_and_b32_e32 v19, 0xff, v0
	v_sub_nc_u16 v0, v28, v1
	v_lshlrev_b32_e32 v1, 4, v19
	v_and_b32_e32 v40, 0xff, v0
	v_add_lshl_u32 v43, v18, v19, 3
	global_load_dwordx4 v[4:7], v1, s[2:3]
	v_lshlrev_b32_e32 v0, 4, v40
	global_load_dwordx4 v[0:3], v0, s[2:3]
	s_waitcnt vmcnt(0) lgkmcnt(0)
	s_barrier
	buffer_gl0_inv
	v_mul_f32_e32 v21, v11, v5
	v_mul_f32_e32 v22, v10, v5
	;; [unrolled: 1-line block ×4, first 2 shown]
	v_fma_f32 v10, v10, v4, -v21
	v_fmac_f32_e32 v22, v11, v4
	v_fma_f32 v11, v16, v6, -v23
	v_mul_f32_e32 v16, v15, v1
	v_mul_f32_e32 v19, v14, v1
	;; [unrolled: 1-line block ×4, first 2 shown]
	v_fmac_f32_e32 v18, v17, v6
	v_fma_f32 v14, v14, v0, -v16
	v_fmac_f32_e32 v19, v15, v0
	v_fma_f32 v15, v12, v2, -v21
	v_fmac_f32_e32 v23, v13, v2
	v_add_f32_e32 v12, v8, v10
	v_add_f32_e32 v17, v9, v22
	;; [unrolled: 1-line block ×4, first 2 shown]
	v_sub_f32_e32 v16, v22, v18
	v_sub_f32_e32 v22, v10, v11
	v_add_f32_e32 v10, v12, v11
	v_add_f32_e32 v11, v17, v18
	v_fma_f32 v9, -0.5, v21, v9
	v_add_f32_e32 v18, v14, v15
	v_sub_f32_e32 v21, v19, v23
	v_add_f32_e32 v26, v25, v19
	v_add_f32_e32 v19, v19, v23
	v_fma_f32 v8, -0.5, v13, v8
	v_add_f32_e32 v17, v24, v14
	v_sub_f32_e32 v14, v14, v15
	v_fmac_f32_e32 v24, -0.5, v18
	v_fmac_f32_e32 v25, -0.5, v19
	v_fmamk_f32 v12, v16, 0x3f5db3d7, v8
	v_fmac_f32_e32 v8, 0xbf5db3d7, v16
	v_fmamk_f32 v13, v22, 0xbf5db3d7, v9
	v_add_f32_e32 v16, v17, v15
	v_add_f32_e32 v17, v26, v23
	v_fmamk_f32 v18, v21, 0x3f5db3d7, v24
	v_fmac_f32_e32 v24, 0xbf5db3d7, v21
	v_fmamk_f32 v19, v14, 0xbf5db3d7, v25
	v_fmac_f32_e32 v25, 0x3f5db3d7, v14
	v_fmac_f32_e32 v9, 0x3f5db3d7, v22
	ds_write2_b64 v43, v[10:11], v[12:13] offset1:7
	ds_write_b64 v43, v[8:9] offset:112
	s_and_saveexec_b32 s1, s0
	s_cbranch_execz .LBB0_11
; %bb.10:
	v_mul_u32_u24_sdwa v8, v39, v20 dst_sel:DWORD dst_unused:UNUSED_PAD src0_sel:WORD_0 src1_sel:DWORD
	v_add_lshl_u32 v8, v8, v40, 3
	ds_write2_b64 v8, v[16:17], v[18:19] offset1:7
	ds_write_b64 v8, v[24:25] offset:112
.LBB0_11:
	s_or_b32 exec_lo, exec_lo, s1
	s_waitcnt lgkmcnt(0)
	s_barrier
	buffer_gl0_inv
	ds_read2_b64 v[20:23], v38 offset1:84
	ds_read_b64 v[26:27], v38 offset:1344
	s_and_saveexec_b32 s1, s0
	s_cbranch_execz .LBB0_13
; %bb.12:
	ds_read2_b64 v[16:19], v38 offset0:63 offset1:147
	ds_read_b64 v[24:25], v38 offset:1848
.LBB0_13:
	s_or_b32 exec_lo, exec_lo, s1
	v_mul_lo_u16 v8, 0x87, v29
	v_mul_lo_u16 v9, 0x87, v30
	v_lshrrev_b16 v8, 8, v8
	v_lshrrev_b16 v9, 8, v9
	v_sub_nc_u16 v10, v37, v8
	v_sub_nc_u16 v11, v28, v9
	v_lshrrev_b16 v10, 1, v10
	v_lshrrev_b16 v11, 1, v11
	v_and_b32_e32 v10, 0x7f, v10
	v_and_b32_e32 v11, 0x7f, v11
	v_add_nc_u16 v8, v10, v8
	v_add_nc_u16 v9, v11, v9
	v_mov_b32_e32 v10, 4
	v_lshrrev_b16 v8, 4, v8
	v_lshrrev_b16 v9, 4, v9
	v_and_b32_e32 v29, 15, v8
	v_and_b32_e32 v8, 15, v9
	v_mul_lo_u16 v9, v29, 21
	v_mul_lo_u16 v8, v8, 21
	v_sub_nc_u16 v30, v37, v9
	v_sub_nc_u16 v42, v28, v8
	v_mov_b32_e32 v28, 3
	v_lshlrev_b32_sdwa v8, v10, v30 dst_sel:DWORD dst_unused:UNUSED_PAD src0_sel:DWORD src1_sel:BYTE_0
	v_lshlrev_b32_sdwa v9, v10, v42 dst_sel:DWORD dst_unused:UNUSED_PAD src0_sel:DWORD src1_sel:BYTE_0
	v_mad_u16 v29, v29, 63, v30
	s_clause 0x1
	global_load_dwordx4 v[12:15], v8, s[2:3] offset:112
	global_load_dwordx4 v[8:11], v9, s[2:3] offset:112
	s_waitcnt vmcnt(0) lgkmcnt(0)
	v_lshlrev_b32_sdwa v44, v28, v29 dst_sel:DWORD dst_unused:UNUSED_PAD src0_sel:DWORD src1_sel:BYTE_0
	s_barrier
	buffer_gl0_inv
	v_mul_f32_e32 v31, v23, v13
	v_mul_f32_e32 v35, v22, v13
	;; [unrolled: 1-line block ×8, first 2 shown]
	v_fma_f32 v22, v22, v12, -v31
	v_fmac_f32_e32 v35, v23, v12
	v_fma_f32 v23, v26, v14, -v36
	v_fmac_f32_e32 v45, v27, v14
	;; [unrolled: 2-line block ×4, first 2 shown]
	v_add_f32_e32 v19, v20, v22
	v_add_f32_e32 v25, v22, v23
	;; [unrolled: 1-line block ×3, first 2 shown]
	v_sub_f32_e32 v47, v22, v23
	v_add_f32_e32 v22, v26, v18
	v_add_f32_e32 v46, v30, v29
	v_sub_f32_e32 v27, v35, v45
	v_add_f32_e32 v31, v21, v35
	v_sub_f32_e32 v48, v30, v29
	v_sub_f32_e32 v49, v26, v18
	v_add_f32_e32 v24, v19, v23
	v_fma_f32 v35, -0.5, v25, v20
	v_fma_f32 v36, -0.5, v36, v21
	;; [unrolled: 1-line block ×4, first 2 shown]
	v_add_f32_e32 v25, v31, v45
	v_fmamk_f32 v45, v27, 0x3f5db3d7, v35
	v_fmamk_f32 v46, v47, 0xbf5db3d7, v36
	;; [unrolled: 1-line block ×3, first 2 shown]
	v_fmac_f32_e32 v22, 0xbf5db3d7, v48
	v_fmamk_f32 v21, v49, 0xbf5db3d7, v23
	v_fmac_f32_e32 v23, 0x3f5db3d7, v49
	v_fmac_f32_e32 v35, 0xbf5db3d7, v27
	;; [unrolled: 1-line block ×3, first 2 shown]
	ds_write2_b64 v44, v[24:25], v[45:46] offset1:21
	ds_write_b64 v44, v[35:36] offset:336
	s_and_saveexec_b32 s1, s0
	s_cbranch_execz .LBB0_15
; %bb.14:
	v_add_f32_e32 v17, v17, v30
	v_add_f32_e32 v16, v16, v26
	v_lshlrev_b32_sdwa v19, v28, v42 dst_sel:DWORD dst_unused:UNUSED_PAD src0_sel:DWORD src1_sel:BYTE_0
	v_add_f32_e32 v17, v17, v29
	v_add_f32_e32 v16, v16, v18
	ds_write2_b64 v19, v[16:17], v[20:21] offset0:189 offset1:210
	ds_write_b64 v19, v[22:23] offset:1848
.LBB0_15:
	s_or_b32 exec_lo, exec_lo, s1
	v_mad_u64_u32 v[24:25], null, v37, 24, s[2:3]
	s_waitcnt lgkmcnt(0)
	s_barrier
	buffer_gl0_inv
	s_clause 0x1
	global_load_dwordx4 v[16:19], v[24:25], off offset:448
	global_load_dwordx2 v[35:36], v[24:25], off offset:464
	ds_read2_b64 v[24:27], v38 offset0:63 offset1:126
	ds_read_b64 v[28:29], v38 offset:1512
	ds_read_b64 v[30:31], v38
	s_waitcnt vmcnt(1) lgkmcnt(2)
	v_mul_f32_e32 v45, v25, v17
	v_mul_f32_e32 v46, v24, v17
	;; [unrolled: 1-line block ×4, first 2 shown]
	s_waitcnt vmcnt(0) lgkmcnt(1)
	v_mul_f32_e32 v49, v29, v36
	v_mul_f32_e32 v50, v28, v36
	v_fma_f32 v24, v24, v16, -v45
	v_fmac_f32_e32 v46, v25, v16
	v_fma_f32 v25, v26, v18, -v47
	v_fmac_f32_e32 v48, v27, v18
	;; [unrolled: 2-line block ×3, first 2 shown]
	s_waitcnt lgkmcnt(0)
	v_sub_f32_e32 v25, v30, v25
	v_sub_f32_e32 v27, v31, v48
	;; [unrolled: 1-line block ×4, first 2 shown]
	v_fma_f32 v45, v30, 2.0, -v25
	v_fma_f32 v47, v31, 2.0, -v27
	;; [unrolled: 1-line block ×4, first 2 shown]
	v_sub_f32_e32 v30, v25, v28
	v_add_f32_e32 v31, v27, v26
	v_sub_f32_e32 v28, v45, v24
	v_sub_f32_e32 v29, v47, v29
	v_fma_f32 v26, v25, 2.0, -v30
	v_fma_f32 v27, v27, 2.0, -v31
	;; [unrolled: 1-line block ×4, first 2 shown]
	ds_write_b64 v38, v[26:27] offset:504
	ds_write2_b64 v38, v[28:29], v[30:31] offset0:126 offset1:189
	ds_write_b64 v38, v[24:25]
	s_waitcnt lgkmcnt(0)
	s_barrier
	buffer_gl0_inv
	s_and_saveexec_b32 s1, vcc_lo
	s_cbranch_execz .LBB0_17
; %bb.16:
	global_load_dwordx2 v[45:46], v38, s[14:15] offset:2016
	s_add_u32 s2, s14, 0x7e0
	s_addc_u32 s3, s15, 0
	s_clause 0x5
	global_load_dwordx2 v[57:58], v38, s[2:3] offset:288
	global_load_dwordx2 v[59:60], v38, s[2:3] offset:576
	;; [unrolled: 1-line block ×6, first 2 shown]
	ds_read_b64 v[47:48], v38
	s_waitcnt vmcnt(6) lgkmcnt(0)
	v_mul_f32_e32 v49, v48, v46
	v_mul_f32_e32 v50, v47, v46
	v_fma_f32 v49, v47, v45, -v49
	v_fmac_f32_e32 v50, v48, v45
	ds_write_b64 v38, v[49:50]
	ds_read2_b64 v[45:48], v38 offset0:36 offset1:72
	ds_read2_b64 v[49:52], v38 offset0:108 offset1:144
	;; [unrolled: 1-line block ×3, first 2 shown]
	s_waitcnt vmcnt(5) lgkmcnt(2)
	v_mul_f32_e32 v70, v46, v58
	v_mul_f32_e32 v69, v45, v58
	s_waitcnt vmcnt(4)
	v_mul_f32_e32 v71, v48, v60
	v_mul_f32_e32 v58, v47, v60
	s_waitcnt vmcnt(3) lgkmcnt(1)
	v_mul_f32_e32 v72, v50, v62
	v_mul_f32_e32 v60, v49, v62
	s_waitcnt vmcnt(2)
	v_mul_f32_e32 v73, v52, v64
	v_mul_f32_e32 v62, v51, v64
	;; [unrolled: 6-line block ×3, first 2 shown]
	v_fma_f32 v68, v45, v57, -v70
	v_fmac_f32_e32 v69, v46, v57
	v_fma_f32 v57, v47, v59, -v71
	v_fmac_f32_e32 v58, v48, v59
	;; [unrolled: 2-line block ×6, first 2 shown]
	ds_write2_b64 v38, v[68:69], v[57:58] offset0:36 offset1:72
	ds_write2_b64 v38, v[59:60], v[61:62] offset0:108 offset1:144
	;; [unrolled: 1-line block ×3, first 2 shown]
.LBB0_17:
	s_or_b32 exec_lo, exec_lo, s1
	s_waitcnt lgkmcnt(0)
	s_barrier
	buffer_gl0_inv
	s_and_saveexec_b32 s1, vcc_lo
	s_cbranch_execz .LBB0_19
; %bb.18:
	ds_read2_b64 v[24:27], v38 offset1:36
	ds_read2_b64 v[28:31], v38 offset0:72 offset1:108
	ds_read2_b64 v[20:23], v38 offset0:144 offset1:180
	ds_read_b64 v[33:34], v38 offset:1728
.LBB0_19:
	s_or_b32 exec_lo, exec_lo, s1
	s_waitcnt lgkmcnt(0)
	v_add_f32_e32 v45, v33, v26
	v_add_f32_e32 v46, v34, v27
	v_sub_f32_e32 v26, v26, v33
	v_sub_f32_e32 v27, v27, v34
	v_add_f32_e32 v33, v22, v28
	v_add_f32_e32 v34, v23, v29
	v_sub_f32_e32 v22, v28, v22
	v_sub_f32_e32 v23, v29, v23
	;; [unrolled: 4-line block ×4, first 2 shown]
	v_sub_f32_e32 v45, v45, v47
	v_sub_f32_e32 v46, v46, v48
	;; [unrolled: 1-line block ×4, first 2 shown]
	v_add_f32_e32 v49, v20, v22
	v_add_f32_e32 v50, v21, v23
	v_sub_f32_e32 v51, v20, v22
	v_sub_f32_e32 v56, v21, v23
	;; [unrolled: 1-line block ×3, first 2 shown]
	v_add_f32_e32 v30, v47, v30
	v_add_f32_e32 v57, v48, v31
	v_sub_f32_e32 v23, v23, v27
	v_sub_f32_e32 v28, v26, v20
	;; [unrolled: 1-line block ×3, first 2 shown]
	v_add_f32_e32 v53, v49, v26
	v_add_f32_e32 v49, v50, v27
	;; [unrolled: 1-line block ×4, first 2 shown]
	v_mul_f32_e32 v31, 0x3f4a47b2, v45
	v_mul_f32_e32 v50, 0x3f4a47b2, v46
	;; [unrolled: 1-line block ×8, first 2 shown]
	v_fmamk_f32 v48, v30, 0xbf955555, v20
	v_fmamk_f32 v51, v57, 0xbf955555, v21
	v_fma_f32 v26, 0x3f3bfb3b, v54, -v33
	v_fma_f32 v27, 0x3f3bfb3b, v55, -v52
	;; [unrolled: 1-line block ×8, first 2 shown]
	v_add_f32_e32 v24, v26, v48
	v_add_f32_e32 v25, v27, v51
	;; [unrolled: 1-line block ×3, first 2 shown]
	v_fmac_f32_e32 v56, 0xbee1c552, v49
	v_fmac_f32_e32 v55, 0xbee1c552, v53
	v_add_f32_e32 v54, v54, v51
	v_fmac_f32_e32 v46, 0xbee1c552, v53
	v_fmac_f32_e32 v30, 0xbee1c552, v49
	v_sub_f32_e32 v22, v24, v56
	v_add_f32_e32 v23, v55, v25
	v_add_f32_e32 v24, v56, v24
	v_sub_f32_e32 v25, v25, v55
	v_sub_f32_e32 v26, v45, v30
	v_add_f32_e32 v27, v46, v54
	s_barrier
	buffer_gl0_inv
	s_and_saveexec_b32 s1, vcc_lo
	s_cbranch_execz .LBB0_21
; %bb.20:
	v_mul_f32_e32 v28, 0xbeae86e6, v28
	v_mul_f32_e32 v29, 0xbeae86e6, v29
	;; [unrolled: 1-line block ×4, first 2 shown]
	v_add_f32_e32 v50, v52, v50
	v_add_f32_e32 v31, v33, v31
	;; [unrolled: 1-line block ×8, first 2 shown]
	v_mov_b32_e32 v28, 3
	v_sub_f32_e32 v29, v54, v46
	v_sub_f32_e32 v34, v47, v31
	v_add_f32_e32 v33, v48, v49
	v_lshlrev_b32_sdwa v41, v28, v41 dst_sel:DWORD dst_unused:UNUSED_PAD src0_sel:DWORD src1_sel:WORD_0
	v_add_f32_e32 v28, v30, v45
	v_add_f32_e32 v31, v31, v47
	v_sub_f32_e32 v30, v48, v49
	ds_write2_b64 v41, v[20:21], v[33:34] offset1:1
	ds_write2_b64 v41, v[28:29], v[22:23] offset0:2 offset1:3
	ds_write2_b64 v41, v[24:25], v[26:27] offset0:4 offset1:5
	ds_write_b64 v41, v[30:31] offset:48
.LBB0_21:
	s_or_b32 exec_lo, exec_lo, s1
	s_waitcnt lgkmcnt(0)
	s_barrier
	buffer_gl0_inv
	ds_read2_b64 v[28:31], v38 offset1:84
	ds_read_b64 v[20:21], v38 offset:1344
	s_and_saveexec_b32 s1, s0
	s_cbranch_execz .LBB0_23
; %bb.22:
	ds_read_b64 v[22:23], v38 offset:504
	ds_read2_b64 v[24:27], v38 offset0:147 offset1:231
.LBB0_23:
	s_or_b32 exec_lo, exec_lo, s1
	s_waitcnt lgkmcnt(1)
	v_mul_f32_e32 v33, v5, v31
	v_mul_f32_e32 v5, v5, v30
	s_waitcnt lgkmcnt(0)
	v_mul_f32_e32 v34, v7, v21
	v_mul_f32_e32 v7, v7, v20
	v_fmac_f32_e32 v33, v4, v30
	v_fma_f32 v4, v4, v31, -v5
	v_mul_f32_e32 v5, v1, v25
	v_fmac_f32_e32 v34, v6, v20
	v_mul_f32_e32 v1, v1, v24
	v_fma_f32 v7, v6, v21, -v7
	v_mul_f32_e32 v20, v3, v27
	v_fmac_f32_e32 v5, v0, v24
	v_mul_f32_e32 v3, v3, v26
	v_fma_f32 v21, v0, v25, -v1
	v_add_f32_e32 v0, v33, v34
	v_fmac_f32_e32 v20, v2, v26
	v_add_f32_e32 v1, v28, v33
	v_fma_f32 v24, v2, v27, -v3
	v_add_f32_e32 v3, v4, v7
	v_fma_f32 v0, -0.5, v0, v28
	v_sub_f32_e32 v25, v4, v7
	v_add_f32_e32 v4, v29, v4
	v_add_f32_e32 v2, v1, v34
	v_fma_f32 v1, -0.5, v3, v29
	v_sub_f32_e32 v26, v33, v34
	v_fmamk_f32 v6, v25, 0xbf5db3d7, v0
	v_fmac_f32_e32 v0, 0x3f5db3d7, v25
	v_add_f32_e32 v3, v4, v7
	v_add_f32_e32 v4, v20, v5
	;; [unrolled: 1-line block ×3, first 2 shown]
	v_fmamk_f32 v7, v26, 0x3f5db3d7, v1
	v_fmac_f32_e32 v1, 0xbf5db3d7, v26
	v_add_f32_e32 v26, v22, v5
	v_fmac_f32_e32 v22, -0.5, v4
	v_sub_f32_e32 v27, v21, v24
	v_add_f32_e32 v21, v23, v21
	v_fmac_f32_e32 v23, -0.5, v25
	v_sub_f32_e32 v25, v5, v20
	v_add_f32_e32 v4, v20, v26
	v_fmamk_f32 v20, v27, 0xbf5db3d7, v22
	v_fmac_f32_e32 v22, 0x3f5db3d7, v27
	v_add_f32_e32 v5, v24, v21
	v_fmamk_f32 v21, v25, 0x3f5db3d7, v23
	v_fmac_f32_e32 v23, 0xbf5db3d7, v25
	s_barrier
	buffer_gl0_inv
	ds_write2_b64 v43, v[2:3], v[6:7] offset1:7
	ds_write_b64 v43, v[0:1] offset:112
	s_and_saveexec_b32 s1, s0
	s_cbranch_execz .LBB0_25
; %bb.24:
	v_mov_b32_e32 v0, 21
	v_mul_u32_u24_sdwa v0, v39, v0 dst_sel:DWORD dst_unused:UNUSED_PAD src0_sel:WORD_0 src1_sel:DWORD
	v_add_lshl_u32 v0, v0, v40, 3
	ds_write2_b64 v0, v[4:5], v[20:21] offset1:7
	ds_write_b64 v0, v[22:23] offset:112
.LBB0_25:
	s_or_b32 exec_lo, exec_lo, s1
	s_waitcnt lgkmcnt(0)
	s_barrier
	buffer_gl0_inv
	ds_read2_b64 v[0:3], v38 offset1:84
	ds_read_b64 v[6:7], v38 offset:1344
	s_and_saveexec_b32 s1, s0
	s_cbranch_execz .LBB0_27
; %bb.26:
	ds_read_b64 v[4:5], v38 offset:504
	ds_read2_b64 v[20:23], v38 offset0:147 offset1:231
.LBB0_27:
	s_or_b32 exec_lo, exec_lo, s1
	s_waitcnt lgkmcnt(1)
	v_mul_f32_e32 v24, v13, v3
	s_waitcnt lgkmcnt(0)
	v_mul_f32_e32 v25, v15, v7
	v_mul_f32_e32 v13, v13, v2
	;; [unrolled: 1-line block ×3, first 2 shown]
	v_fmac_f32_e32 v24, v12, v2
	v_fmac_f32_e32 v25, v14, v6
	v_fma_f32 v2, v12, v3, -v13
	v_fma_f32 v3, v14, v7, -v15
	s_barrier
	v_add_f32_e32 v7, v0, v24
	v_add_f32_e32 v6, v24, v25
	;; [unrolled: 1-line block ×4, first 2 shown]
	v_sub_f32_e32 v13, v2, v3
	v_sub_f32_e32 v15, v24, v25
	v_fma_f32 v0, -0.5, v6, v0
	v_add_f32_e32 v2, v7, v25
	v_fma_f32 v1, -0.5, v12, v1
	v_add_f32_e32 v3, v14, v3
	buffer_gl0_inv
	v_fmamk_f32 v6, v13, 0xbf5db3d7, v0
	v_fmac_f32_e32 v0, 0x3f5db3d7, v13
	v_fmamk_f32 v7, v15, 0x3f5db3d7, v1
	v_fmac_f32_e32 v1, 0xbf5db3d7, v15
	ds_write2_b64 v44, v[2:3], v[6:7] offset1:21
	ds_write_b64 v44, v[0:1] offset:336
	s_and_saveexec_b32 s1, s0
	s_cbranch_execz .LBB0_29
; %bb.28:
	v_mul_f32_e32 v2, v9, v21
	v_mul_f32_e32 v0, v9, v20
	;; [unrolled: 1-line block ×4, first 2 shown]
	v_fmac_f32_e32 v2, v8, v20
	v_fma_f32 v0, v8, v21, -v0
	v_fma_f32 v3, v10, v23, -v1
	v_fmac_f32_e32 v6, v10, v22
	v_add_f32_e32 v10, v5, v0
	v_add_f32_e32 v1, v3, v0
	;; [unrolled: 1-line block ×3, first 2 shown]
	v_sub_f32_e32 v8, v2, v6
	v_sub_f32_e32 v9, v0, v3
	v_add_f32_e32 v2, v4, v2
	v_fma_f32 v1, -0.5, v1, v5
	v_fma_f32 v0, -0.5, v7, v4
	v_mov_b32_e32 v7, 3
	v_add_f32_e32 v3, v3, v10
	v_add_f32_e32 v2, v6, v2
	v_fmamk_f32 v5, v8, 0x3f5db3d7, v1
	v_fmamk_f32 v4, v9, 0xbf5db3d7, v0
	v_lshlrev_b32_sdwa v6, v7, v42 dst_sel:DWORD dst_unused:UNUSED_PAD src0_sel:DWORD src1_sel:BYTE_0
	v_fmac_f32_e32 v1, 0xbf5db3d7, v8
	v_fmac_f32_e32 v0, 0x3f5db3d7, v9
	ds_write2_b64 v6, v[2:3], v[4:5] offset0:189 offset1:210
	ds_write_b64 v6, v[0:1] offset:1848
.LBB0_29:
	s_or_b32 exec_lo, exec_lo, s1
	s_waitcnt lgkmcnt(0)
	s_barrier
	buffer_gl0_inv
	ds_read2_b64 v[0:3], v38 offset0:63 offset1:126
	ds_read_b64 v[4:5], v38 offset:1512
	ds_read_b64 v[6:7], v38
	s_waitcnt lgkmcnt(2)
	v_mul_f32_e32 v8, v17, v1
	v_mul_f32_e32 v9, v17, v0
	v_mul_f32_e32 v10, v19, v3
	v_mul_f32_e32 v11, v19, v2
	s_waitcnt lgkmcnt(1)
	v_mul_f32_e32 v12, v36, v5
	v_mul_f32_e32 v13, v36, v4
	v_fmac_f32_e32 v8, v16, v0
	v_fma_f32 v0, v16, v1, -v9
	v_fmac_f32_e32 v10, v18, v2
	v_fma_f32 v1, v18, v3, -v11
	;; [unrolled: 2-line block ×3, first 2 shown]
	s_waitcnt lgkmcnt(0)
	v_sub_f32_e32 v4, v6, v10
	v_sub_f32_e32 v5, v7, v1
	;; [unrolled: 1-line block ×4, first 2 shown]
	v_fma_f32 v6, v6, 2.0, -v4
	v_fma_f32 v7, v7, 2.0, -v5
	;; [unrolled: 1-line block ×4, first 2 shown]
	v_add_f32_e32 v0, v4, v2
	v_sub_f32_e32 v1, v5, v1
	v_sub_f32_e32 v2, v6, v3
	;; [unrolled: 1-line block ×3, first 2 shown]
	v_fma_f32 v4, v4, 2.0, -v0
	v_fma_f32 v5, v5, 2.0, -v1
	v_fma_f32 v6, v6, 2.0, -v2
	v_fma_f32 v7, v7, 2.0, -v3
	ds_write_b64 v38, v[4:5] offset:504
	ds_write2_b64 v38, v[2:3], v[0:1] offset0:126 offset1:189
	ds_write_b64 v38, v[6:7]
	s_waitcnt lgkmcnt(0)
	s_barrier
	buffer_gl0_inv
	s_and_b32 exec_lo, exec_lo, vcc_lo
	s_cbranch_execz .LBB0_31
; %bb.30:
	s_clause 0x6
	global_load_dwordx2 v[12:13], v38, s[14:15]
	global_load_dwordx2 v[14:15], v38, s[14:15] offset:288
	global_load_dwordx2 v[16:17], v38, s[14:15] offset:576
	;; [unrolled: 1-line block ×6, first 2 shown]
	v_mad_u64_u32 v[26:27], null, s6, v32, 0
	v_mad_u64_u32 v[28:29], null, s4, v37, 0
	ds_read_b64 v[30:31], v38
	ds_read2_b64 v[0:3], v38 offset0:36 offset1:72
	ds_read2_b64 v[4:7], v38 offset0:108 offset1:144
	s_mov_b32 s0, 0x10410410
	v_mov_b32_e32 v8, v27
	s_mov_b32 s1, 0x3f704104
	v_mov_b32_e32 v9, v29
	s_mul_i32 s2, s5, 0x120
	s_mul_hi_u32 s3, s4, 0x120
	s_mulk_i32 s4, 0x120
	s_add_i32 s3, s3, s2
	v_mad_u64_u32 v[32:33], null, s7, v32, v[8:9]
	v_mad_u64_u32 v[33:34], null, s5, v37, v[9:10]
	ds_read2_b64 v[8:11], v38 offset0:180 offset1:216
	v_mov_b32_e32 v27, v32
	v_mov_b32_e32 v29, v33
	v_lshlrev_b64 v[26:27], 3, v[26:27]
	v_lshlrev_b64 v[28:29], 3, v[28:29]
	v_add_co_u32 v26, vcc_lo, s12, v26
	v_add_co_ci_u32_e32 v27, vcc_lo, s13, v27, vcc_lo
	v_add_co_u32 v26, vcc_lo, v26, v28
	v_add_co_ci_u32_e32 v27, vcc_lo, v27, v29, vcc_lo
	s_waitcnt vmcnt(6) lgkmcnt(3)
	v_mul_f32_e32 v32, v31, v13
	v_mul_f32_e32 v13, v30, v13
	s_waitcnt vmcnt(5) lgkmcnt(2)
	v_mul_f32_e32 v33, v1, v15
	v_mul_f32_e32 v15, v0, v15
	s_waitcnt vmcnt(4)
	v_mul_f32_e32 v34, v3, v17
	v_mul_f32_e32 v17, v2, v17
	s_waitcnt vmcnt(3) lgkmcnt(1)
	v_mul_f32_e32 v35, v5, v19
	v_mul_f32_e32 v19, v4, v19
	s_waitcnt vmcnt(2)
	v_mul_f32_e32 v36, v7, v21
	v_mul_f32_e32 v21, v6, v21
	s_waitcnt vmcnt(1) lgkmcnt(0)
	v_mul_f32_e32 v37, v9, v23
	v_mul_f32_e32 v23, v8, v23
	v_fmac_f32_e32 v32, v30, v12
	v_fma_f32 v12, v12, v31, -v13
	s_waitcnt vmcnt(0)
	v_mul_f32_e32 v38, v11, v25
	v_mul_f32_e32 v25, v10, v25
	v_fmac_f32_e32 v33, v0, v14
	v_fma_f32 v13, v14, v1, -v15
	v_fmac_f32_e32 v34, v2, v16
	v_fma_f32 v14, v16, v3, -v17
	;; [unrolled: 2-line block ×5, first 2 shown]
	v_cvt_f64_f32_e32 v[0:1], v32
	v_cvt_f64_f32_e32 v[2:3], v12
	v_fmac_f32_e32 v38, v10, v24
	v_fma_f32 v30, v24, v11, -v25
	v_cvt_f64_f32_e32 v[4:5], v33
	v_cvt_f64_f32_e32 v[6:7], v13
	;; [unrolled: 1-line block ×12, first 2 shown]
	v_mul_f64 v[0:1], v[0:1], s[0:1]
	v_mul_f64 v[2:3], v[2:3], s[0:1]
	;; [unrolled: 1-line block ×14, first 2 shown]
	v_add_co_u32 v30, vcc_lo, v26, s4
	v_add_co_ci_u32_e32 v31, vcc_lo, s3, v27, vcc_lo
	v_add_co_u32 v32, vcc_lo, v30, s4
	v_cvt_f32_f64_e32 v0, v[0:1]
	v_cvt_f32_f64_e32 v1, v[2:3]
	v_add_co_ci_u32_e32 v33, vcc_lo, s3, v31, vcc_lo
	v_cvt_f32_f64_e32 v2, v[4:5]
	v_cvt_f32_f64_e32 v3, v[6:7]
	;; [unrolled: 1-line block ×10, first 2 shown]
	v_add_co_u32 v14, vcc_lo, v32, s4
	v_cvt_f32_f64_e32 v12, v[24:25]
	v_cvt_f32_f64_e32 v13, v[28:29]
	v_add_co_ci_u32_e32 v15, vcc_lo, s3, v33, vcc_lo
	v_add_co_u32 v16, vcc_lo, v14, s4
	v_add_co_ci_u32_e32 v17, vcc_lo, s3, v15, vcc_lo
	v_add_co_u32 v18, vcc_lo, v16, s4
	;; [unrolled: 2-line block ×3, first 2 shown]
	v_add_co_ci_u32_e32 v21, vcc_lo, s3, v19, vcc_lo
	global_store_dwordx2 v[26:27], v[0:1], off
	global_store_dwordx2 v[30:31], v[2:3], off
	;; [unrolled: 1-line block ×7, first 2 shown]
.LBB0_31:
	s_endpgm
	.section	.rodata,"a",@progbits
	.p2align	6, 0x0
	.amdhsa_kernel bluestein_single_fwd_len252_dim1_sp_op_CI_CI
		.amdhsa_group_segment_fixed_size 2016
		.amdhsa_private_segment_fixed_size 0
		.amdhsa_kernarg_size 104
		.amdhsa_user_sgpr_count 6
		.amdhsa_user_sgpr_private_segment_buffer 1
		.amdhsa_user_sgpr_dispatch_ptr 0
		.amdhsa_user_sgpr_queue_ptr 0
		.amdhsa_user_sgpr_kernarg_segment_ptr 1
		.amdhsa_user_sgpr_dispatch_id 0
		.amdhsa_user_sgpr_flat_scratch_init 0
		.amdhsa_user_sgpr_private_segment_size 0
		.amdhsa_wavefront_size32 1
		.amdhsa_uses_dynamic_stack 0
		.amdhsa_system_sgpr_private_segment_wavefront_offset 0
		.amdhsa_system_sgpr_workgroup_id_x 1
		.amdhsa_system_sgpr_workgroup_id_y 0
		.amdhsa_system_sgpr_workgroup_id_z 0
		.amdhsa_system_sgpr_workgroup_info 0
		.amdhsa_system_vgpr_workitem_id 0
		.amdhsa_next_free_vgpr 76
		.amdhsa_next_free_sgpr 16
		.amdhsa_reserve_vcc 1
		.amdhsa_reserve_flat_scratch 0
		.amdhsa_float_round_mode_32 0
		.amdhsa_float_round_mode_16_64 0
		.amdhsa_float_denorm_mode_32 3
		.amdhsa_float_denorm_mode_16_64 3
		.amdhsa_dx10_clamp 1
		.amdhsa_ieee_mode 1
		.amdhsa_fp16_overflow 0
		.amdhsa_workgroup_processor_mode 1
		.amdhsa_memory_ordered 1
		.amdhsa_forward_progress 0
		.amdhsa_shared_vgpr_count 0
		.amdhsa_exception_fp_ieee_invalid_op 0
		.amdhsa_exception_fp_denorm_src 0
		.amdhsa_exception_fp_ieee_div_zero 0
		.amdhsa_exception_fp_ieee_overflow 0
		.amdhsa_exception_fp_ieee_underflow 0
		.amdhsa_exception_fp_ieee_inexact 0
		.amdhsa_exception_int_div_zero 0
	.end_amdhsa_kernel
	.text
.Lfunc_end0:
	.size	bluestein_single_fwd_len252_dim1_sp_op_CI_CI, .Lfunc_end0-bluestein_single_fwd_len252_dim1_sp_op_CI_CI
                                        ; -- End function
	.section	.AMDGPU.csdata,"",@progbits
; Kernel info:
; codeLenInByte = 5496
; NumSgprs: 18
; NumVgprs: 76
; ScratchSize: 0
; MemoryBound: 0
; FloatMode: 240
; IeeeMode: 1
; LDSByteSize: 2016 bytes/workgroup (compile time only)
; SGPRBlocks: 2
; VGPRBlocks: 9
; NumSGPRsForWavesPerEU: 18
; NumVGPRsForWavesPerEU: 76
; Occupancy: 12
; WaveLimiterHint : 1
; COMPUTE_PGM_RSRC2:SCRATCH_EN: 0
; COMPUTE_PGM_RSRC2:USER_SGPR: 6
; COMPUTE_PGM_RSRC2:TRAP_HANDLER: 0
; COMPUTE_PGM_RSRC2:TGID_X_EN: 1
; COMPUTE_PGM_RSRC2:TGID_Y_EN: 0
; COMPUTE_PGM_RSRC2:TGID_Z_EN: 0
; COMPUTE_PGM_RSRC2:TIDIG_COMP_CNT: 0
	.text
	.p2alignl 6, 3214868480
	.fill 48, 4, 3214868480
	.type	__hip_cuid_6b4657271e664c4e,@object ; @__hip_cuid_6b4657271e664c4e
	.section	.bss,"aw",@nobits
	.globl	__hip_cuid_6b4657271e664c4e
__hip_cuid_6b4657271e664c4e:
	.byte	0                               ; 0x0
	.size	__hip_cuid_6b4657271e664c4e, 1

	.ident	"AMD clang version 19.0.0git (https://github.com/RadeonOpenCompute/llvm-project roc-6.4.0 25133 c7fe45cf4b819c5991fe208aaa96edf142730f1d)"
	.section	".note.GNU-stack","",@progbits
	.addrsig
	.addrsig_sym __hip_cuid_6b4657271e664c4e
	.amdgpu_metadata
---
amdhsa.kernels:
  - .args:
      - .actual_access:  read_only
        .address_space:  global
        .offset:         0
        .size:           8
        .value_kind:     global_buffer
      - .actual_access:  read_only
        .address_space:  global
        .offset:         8
        .size:           8
        .value_kind:     global_buffer
      - .actual_access:  read_only
        .address_space:  global
        .offset:         16
        .size:           8
        .value_kind:     global_buffer
      - .actual_access:  read_only
        .address_space:  global
        .offset:         24
        .size:           8
        .value_kind:     global_buffer
      - .actual_access:  read_only
        .address_space:  global
        .offset:         32
        .size:           8
        .value_kind:     global_buffer
      - .offset:         40
        .size:           8
        .value_kind:     by_value
      - .address_space:  global
        .offset:         48
        .size:           8
        .value_kind:     global_buffer
      - .address_space:  global
        .offset:         56
        .size:           8
        .value_kind:     global_buffer
      - .address_space:  global
        .offset:         64
        .size:           8
        .value_kind:     global_buffer
      - .address_space:  global
        .offset:         72
        .size:           8
        .value_kind:     global_buffer
      - .offset:         80
        .size:           4
        .value_kind:     by_value
      - .address_space:  global
        .offset:         88
        .size:           8
        .value_kind:     global_buffer
      - .address_space:  global
        .offset:         96
        .size:           8
        .value_kind:     global_buffer
    .group_segment_fixed_size: 2016
    .kernarg_segment_align: 8
    .kernarg_segment_size: 104
    .language:       OpenCL C
    .language_version:
      - 2
      - 0
    .max_flat_workgroup_size: 63
    .name:           bluestein_single_fwd_len252_dim1_sp_op_CI_CI
    .private_segment_fixed_size: 0
    .sgpr_count:     18
    .sgpr_spill_count: 0
    .symbol:         bluestein_single_fwd_len252_dim1_sp_op_CI_CI.kd
    .uniform_work_group_size: 1
    .uses_dynamic_stack: false
    .vgpr_count:     76
    .vgpr_spill_count: 0
    .wavefront_size: 32
    .workgroup_processor_mode: 1
amdhsa.target:   amdgcn-amd-amdhsa--gfx1030
amdhsa.version:
  - 1
  - 2
...

	.end_amdgpu_metadata
